;; amdgpu-corpus repo=ROCm/rocFFT kind=compiled arch=gfx906 opt=O3
	.text
	.amdgcn_target "amdgcn-amd-amdhsa--gfx906"
	.amdhsa_code_object_version 6
	.protected	bluestein_single_back_len1568_dim1_sp_op_CI_CI ; -- Begin function bluestein_single_back_len1568_dim1_sp_op_CI_CI
	.globl	bluestein_single_back_len1568_dim1_sp_op_CI_CI
	.p2align	8
	.type	bluestein_single_back_len1568_dim1_sp_op_CI_CI,@function
bluestein_single_back_len1568_dim1_sp_op_CI_CI: ; @bluestein_single_back_len1568_dim1_sp_op_CI_CI
; %bb.0:
	s_load_dwordx4 s[8:11], s[4:5], 0x28
	v_mul_u32_u24_e32 v1, 0x125, v0
	v_add_u32_sdwa v38, s6, v1 dst_sel:DWORD dst_unused:UNUSED_PAD src0_sel:DWORD src1_sel:WORD_1
	v_mov_b32_e32 v39, 0
	s_waitcnt lgkmcnt(0)
	v_cmp_gt_u64_e32 vcc, s[8:9], v[38:39]
	s_and_saveexec_b64 s[0:1], vcc
	s_cbranch_execz .LBB0_47
; %bb.1:
	s_load_dwordx4 s[12:15], s[4:5], 0x18
	s_movk_i32 s6, 0xe0
	v_mul_lo_u16_sdwa v1, v1, s6 dst_sel:DWORD dst_unused:UNUSED_PAD src0_sel:WORD_1 src1_sel:DWORD
	v_sub_u16_e32 v64, v0, v1
	v_lshlrev_b32_e32 v61, 3, v64
	s_waitcnt lgkmcnt(0)
	s_load_dwordx4 s[0:3], s[12:13], 0x0
	s_waitcnt lgkmcnt(0)
	v_mad_u64_u32 v[0:1], s[6:7], s2, v38, 0
	v_mad_u64_u32 v[2:3], s[6:7], s0, v64, 0
	s_load_dwordx2 s[12:13], s[4:5], 0x0
	s_mul_i32 s6, s1, 0x310
	v_mad_u64_u32 v[4:5], s[2:3], s3, v38, v[1:2]
	s_mul_hi_u32 s7, s0, 0x310
	s_add_i32 s7, s7, s6
	v_mad_u64_u32 v[5:6], s[2:3], s1, v64, v[3:4]
	v_mov_b32_e32 v1, v4
	v_lshlrev_b64 v[0:1], 3, v[0:1]
	v_mov_b32_e32 v6, s11
	v_mov_b32_e32 v3, v5
	v_add_co_u32_e32 v4, vcc, s10, v0
	v_addc_co_u32_e32 v5, vcc, v6, v1, vcc
	v_lshlrev_b64 v[0:1], 3, v[2:3]
	s_waitcnt lgkmcnt(0)
	v_mov_b32_e32 v2, s13
	v_add_co_u32_e32 v0, vcc, v4, v0
	v_add_co_u32_e64 v62, s[2:3], s12, v61
	s_mul_i32 s6, s0, 0x310
	v_addc_co_u32_e32 v1, vcc, v5, v1, vcc
	v_addc_co_u32_e64 v63, vcc, 0, v2, s[2:3]
	s_lshl_b64 s[16:17], s[6:7], 3
	v_mov_b32_e32 v16, s17
	v_add_co_u32_e32 v2, vcc, s16, v0
	v_addc_co_u32_e32 v3, vcc, v1, v16, vcc
	s_movk_i32 s6, 0x1000
	global_load_dwordx2 v[4:5], v[0:1], off
	global_load_dwordx2 v[6:7], v[2:3], off
	v_add_co_u32_e32 v0, vcc, s6, v62
	s_mul_hi_u32 s6, s0, 0xfffffdd0
	s_mulk_i32 s1, 0xfdd0
	s_sub_i32 s6, s6, s0
	s_add_i32 s1, s6, s1
	s_mulk_i32 s0, 0xfdd0
	v_addc_co_u32_e32 v1, vcc, 0, v63, vcc
	s_lshl_b64 s[18:19], s[0:1], 3
	v_mov_b32_e32 v10, s19
	v_add_co_u32_e32 v2, vcc, s18, v2
	v_addc_co_u32_e32 v3, vcc, v3, v10, vcc
	v_add_co_u32_e32 v8, vcc, s16, v2
	v_addc_co_u32_e32 v9, vcc, v3, v16, vcc
	global_load_dwordx2 v[47:48], v61, s[12:13]
	global_load_dwordx2 v[43:44], v61, s[12:13] offset:1792
	global_load_dwordx2 v[45:46], v[0:1], off offset:2176
	global_load_dwordx2 v[41:42], v[0:1], off offset:3968
	v_add_co_u32_e32 v0, vcc, s18, v8
	v_addc_co_u32_e32 v1, vcc, v9, v10, vcc
	global_load_dwordx2 v[10:11], v[2:3], off
	global_load_dwordx2 v[12:13], v[8:9], off
	;; [unrolled: 1-line block ×3, first 2 shown]
	global_load_dwordx2 v[36:37], v61, s[12:13] offset:3584
	v_add_co_u32_e32 v0, vcc, s16, v0
	v_addc_co_u32_e32 v1, vcc, v1, v16, vcc
	s_movk_i32 s0, 0x2000
	v_add_co_u32_e32 v2, vcc, s0, v62
	v_addc_co_u32_e32 v3, vcc, 0, v63, vcc
	global_load_dwordx2 v[39:40], v[2:3], off offset:1664
	global_load_dwordx2 v[8:9], v[0:1], off
	s_load_dwordx2 s[6:7], s[4:5], 0x38
	s_load_dwordx4 s[8:11], s[14:15], 0x0
	s_movk_i32 s0, 0x70
	v_cmp_gt_u16_e64 s[0:1], s0, v64
	s_waitcnt vmcnt(9)
	v_mul_f32_e32 v2, v5, v48
	v_mul_f32_e32 v3, v4, v48
	v_fmac_f32_e32 v2, v4, v47
	v_fma_f32 v3, v5, v47, -v3
	s_waitcnt vmcnt(7)
	v_mul_f32_e32 v4, v7, v46
	v_mul_f32_e32 v5, v6, v46
	v_fmac_f32_e32 v4, v6, v45
	v_fma_f32 v5, v7, v45, -v5
	;; [unrolled: 5-line block ×3, first 2 shown]
	ds_write_b64 v61, v[4:5] offset:6272
	ds_write2_b64 v61, v[2:3], v[6:7] offset1:224
	s_waitcnt vmcnt(4)
	v_mul_f32_e32 v2, v12, v42
	v_fma_f32 v5, v13, v41, -v2
	s_waitcnt vmcnt(2)
	v_mul_f32_e32 v2, v15, v37
	v_mul_f32_e32 v3, v14, v37
	v_fmac_f32_e32 v2, v14, v36
	v_fma_f32 v3, v15, v36, -v3
	v_mul_f32_e32 v4, v13, v42
	ds_write_b64 v61, v[2:3] offset:3584
	s_waitcnt vmcnt(0)
	v_mul_f32_e32 v2, v9, v40
	v_mul_f32_e32 v3, v8, v40
	v_fmac_f32_e32 v4, v12, v41
	v_fmac_f32_e32 v2, v8, v39
	v_fma_f32 v3, v9, v39, -v3
	v_add_u32_e32 v6, 0x1f00, v61
	ds_write2_b64 v6, v[4:5], v[2:3] offset0:16 offset1:240
	s_and_saveexec_b64 s[14:15], s[0:1]
	s_cbranch_execz .LBB0_3
; %bb.2:
	v_mov_b32_e32 v2, s19
	v_add_co_u32_e32 v0, vcc, s18, v0
	v_addc_co_u32_e32 v1, vcc, v1, v2, vcc
	v_add_co_u32_e32 v4, vcc, 0x1000, v62
	v_addc_co_u32_e32 v5, vcc, 0, v63, vcc
	global_load_dwordx2 v[2:3], v[0:1], off
	v_mov_b32_e32 v6, s17
	v_add_co_u32_e32 v0, vcc, s16, v0
	v_addc_co_u32_e32 v1, vcc, v1, v6, vcc
	v_add_co_u32_e32 v6, vcc, 0x2000, v62
	global_load_dwordx2 v[4:5], v[4:5], off offset:1280
	v_addc_co_u32_e32 v7, vcc, 0, v63, vcc
	global_load_dwordx2 v[6:7], v[6:7], off offset:3456
	s_waitcnt vmcnt(1)
	v_mul_f32_e32 v8, v3, v5
	global_load_dwordx2 v[0:1], v[0:1], off
	v_mul_f32_e32 v5, v2, v5
	v_fmac_f32_e32 v8, v2, v4
	v_fma_f32 v9, v3, v4, -v5
	ds_write_b64 v61, v[8:9] offset:5376
	s_waitcnt vmcnt(0)
	v_mul_f32_e32 v2, v1, v7
	v_mul_f32_e32 v3, v0, v7
	v_fmac_f32_e32 v2, v0, v6
	v_fma_f32 v3, v1, v6, -v3
	ds_write_b64 v61, v[2:3] offset:11648
.LBB0_3:
	s_or_b64 exec, exec, s[14:15]
	v_add_u32_e32 v4, 0x1800, v61
	s_waitcnt lgkmcnt(0)
	s_barrier
	ds_read2_b64 v[0:3], v61 offset1:224
	ds_read2_b64 v[4:7], v4 offset0:16 offset1:240
	ds_read_b64 v[8:9], v61 offset:3584
	ds_read_b64 v[12:13], v61 offset:9856
                                        ; implicit-def: $vgpr14
                                        ; implicit-def: $vgpr10
	s_and_saveexec_b64 s[14:15], s[0:1]
	s_cbranch_execz .LBB0_5
; %bb.4:
	ds_read_b64 v[10:11], v61 offset:5376
	ds_read_b64 v[14:15], v61 offset:11648
.LBB0_5:
	s_or_b64 exec, exec, s[14:15]
	s_load_dwordx2 s[4:5], s[4:5], 0x8
	s_waitcnt lgkmcnt(0)
	v_sub_f32_e32 v6, v2, v6
	v_sub_f32_e32 v7, v3, v7
	v_lshlrev_b32_e32 v16, 1, v64
	v_add_co_u32_e32 v17, vcc, 0x2a0, v64
	v_sub_f32_e32 v20, v0, v4
	v_sub_f32_e32 v21, v1, v5
	v_fma_f32 v4, v2, 2.0, -v6
	v_fma_f32 v5, v3, 2.0, -v7
	v_sub_f32_e32 v24, v8, v12
	v_sub_f32_e32 v25, v9, v13
	;; [unrolled: 1-line block ×4, first 2 shown]
	v_fma_f32 v18, v0, 2.0, -v20
	v_fma_f32 v19, v1, 2.0, -v21
	;; [unrolled: 1-line block ×6, first 2 shown]
	v_lshlrev_b32_e32 v68, 4, v64
	v_add_u32_e32 v74, 0x1c0, v16
	v_lshlrev_b32_e32 v8, 3, v16
	v_add_u32_e32 v75, 0x380, v16
	v_lshlrev_b32_e32 v67, 4, v17
	s_barrier
	ds_write_b128 v68, v[18:21]
	ds_write_b128 v8, v[4:7] offset:3584
	ds_write_b128 v8, v[22:25] offset:7168
	s_and_saveexec_b64 s[14:15], s[0:1]
	s_cbranch_execz .LBB0_7
; %bb.6:
	ds_write_b128 v67, v[0:3]
.LBB0_7:
	s_or_b64 exec, exec, s[14:15]
	v_add_u32_e32 v8, 0x1800, v61
	s_waitcnt lgkmcnt(0)
	s_barrier
	ds_read2_b64 v[4:7], v61 offset1:224
	ds_read2_b64 v[8:11], v8 offset0:16 offset1:240
	ds_read_b64 v[12:13], v61 offset:3584
	ds_read_b64 v[14:15], v61 offset:9856
	s_and_saveexec_b64 s[14:15], s[0:1]
	s_cbranch_execz .LBB0_9
; %bb.8:
	ds_read_b64 v[0:1], v61 offset:5376
	ds_read_b64 v[2:3], v61 offset:11648
.LBB0_9:
	s_or_b64 exec, exec, s[14:15]
	v_and_b32_e32 v66, 1, v64
	v_lshlrev_b32_e32 v18, 3, v66
	global_load_dwordx2 v[49:50], v18, s[4:5]
	s_movk_i32 s14, 0x1fc
	s_movk_i32 s15, 0x3fc
	;; [unrolled: 1-line block ×3, first 2 shown]
	v_and_or_b32 v18, v16, s14, v66
	v_and_or_b32 v19, v74, s15, v66
	v_and_or_b32 v20, v75, s12, v66
	v_lshlrev_b32_e32 v72, 3, v18
	v_lshlrev_b32_e32 v71, 3, v19
	;; [unrolled: 1-line block ×4, first 2 shown]
	s_waitcnt vmcnt(0) lgkmcnt(0)
	s_barrier
	v_mul_f32_e32 v18, v9, v50
	v_mul_f32_e32 v19, v8, v50
	;; [unrolled: 1-line block ×8, first 2 shown]
	v_fma_f32 v8, v8, v49, -v18
	v_fmac_f32_e32 v19, v9, v49
	v_fma_f32 v9, v10, v49, -v20
	v_fmac_f32_e32 v21, v11, v49
	v_fma_f32 v10, v14, v49, -v22
	v_fma_f32 v11, v2, v49, -v24
	v_fmac_f32_e32 v25, v3, v49
	v_fmac_f32_e32 v23, v15, v49
	v_sub_f32_e32 v2, v4, v8
	v_sub_f32_e32 v3, v5, v19
	;; [unrolled: 1-line block ×8, first 2 shown]
	v_fma_f32 v4, v4, 2.0, -v2
	v_fma_f32 v5, v5, 2.0, -v3
	;; [unrolled: 1-line block ×8, first 2 shown]
	ds_write2_b64 v72, v[4:5], v[2:3] offset1:2
	ds_write2_b64 v71, v[6:7], v[14:15] offset1:2
	;; [unrolled: 1-line block ×3, first 2 shown]
	s_and_saveexec_b64 s[14:15], s[0:1]
	s_cbranch_execz .LBB0_11
; %bb.10:
	v_and_or_b32 v0, v65, s12, v66
	v_lshlrev_b32_e32 v0, 3, v0
	ds_write2_b64 v0, v[8:9], v[10:11] offset1:2
.LBB0_11:
	s_or_b64 exec, exec, s[14:15]
	v_add_u32_e32 v4, 0x1800, v61
	s_waitcnt lgkmcnt(0)
	s_barrier
	ds_read2_b64 v[0:3], v61 offset1:224
	ds_read2_b64 v[4:7], v4 offset0:16 offset1:240
	ds_read_b64 v[12:13], v61 offset:3584
	ds_read_b64 v[14:15], v61 offset:9856
	s_and_saveexec_b64 s[14:15], s[0:1]
	s_cbranch_execz .LBB0_13
; %bb.12:
	ds_read_b64 v[8:9], v61 offset:5376
	ds_read_b64 v[10:11], v61 offset:11648
.LBB0_13:
	s_or_b64 exec, exec, s[14:15]
	v_and_b32_e32 v69, 3, v64
	v_lshlrev_b32_e32 v17, 3, v69
	global_load_dwordx2 v[51:52], v17, s[4:5] offset:16
	s_movk_i32 s14, 0x1f8
	s_movk_i32 s15, 0x3f8
	;; [unrolled: 1-line block ×3, first 2 shown]
	v_and_or_b32 v17, v16, s14, v69
	v_and_or_b32 v18, v74, s15, v69
	;; [unrolled: 1-line block ×3, first 2 shown]
	v_lshlrev_b32_e32 v78, 3, v17
	v_lshlrev_b32_e32 v77, 3, v18
	;; [unrolled: 1-line block ×3, first 2 shown]
	s_waitcnt vmcnt(0) lgkmcnt(0)
	s_barrier
	v_mul_f32_e32 v17, v5, v52
	v_mul_f32_e32 v18, v4, v52
	;; [unrolled: 1-line block ×8, first 2 shown]
	v_fma_f32 v4, v4, v51, -v17
	v_fmac_f32_e32 v18, v5, v51
	v_fma_f32 v10, v10, v51, -v23
	v_fmac_f32_e32 v24, v11, v51
	;; [unrolled: 2-line block ×4, first 2 shown]
	v_sub_f32_e32 v4, v0, v4
	v_sub_f32_e32 v5, v1, v18
	;; [unrolled: 1-line block ×8, first 2 shown]
	v_fma_f32 v0, v0, 2.0, -v4
	v_fma_f32 v1, v1, 2.0, -v5
	;; [unrolled: 1-line block ×8, first 2 shown]
	ds_write2_b64 v78, v[0:1], v[4:5] offset1:4
	ds_write2_b64 v77, v[2:3], v[6:7] offset1:4
	;; [unrolled: 1-line block ×3, first 2 shown]
	s_and_saveexec_b64 s[14:15], s[0:1]
	s_cbranch_execz .LBB0_15
; %bb.14:
	v_and_or_b32 v0, v65, s12, v69
	v_lshlrev_b32_e32 v0, 3, v0
	ds_write2_b64 v0, v[8:9], v[10:11] offset1:4
.LBB0_15:
	s_or_b64 exec, exec, s[14:15]
	v_add_u32_e32 v4, 0x1800, v61
	s_waitcnt lgkmcnt(0)
	s_barrier
	ds_read2_b64 v[0:3], v61 offset1:224
	ds_read2_b64 v[4:7], v4 offset0:16 offset1:240
	ds_read_b64 v[12:13], v61 offset:3584
	ds_read_b64 v[14:15], v61 offset:9856
	s_and_saveexec_b64 s[14:15], s[0:1]
	s_cbranch_execz .LBB0_17
; %bb.16:
	ds_read_b64 v[8:9], v61 offset:5376
	ds_read_b64 v[10:11], v61 offset:11648
.LBB0_17:
	s_or_b64 exec, exec, s[14:15]
	v_and_b32_e32 v73, 7, v64
	v_lshlrev_b32_e32 v17, 3, v73
	global_load_dwordx2 v[53:54], v17, s[4:5] offset:48
	s_movk_i32 s12, 0x1f0
	s_waitcnt vmcnt(0) lgkmcnt(0)
	s_barrier
	v_mul_f32_e32 v17, v5, v54
	v_fma_f32 v17, v4, v53, -v17
	v_mul_f32_e32 v18, v4, v54
	v_mul_f32_e32 v4, v7, v54
	v_fma_f32 v19, v6, v53, -v4
	v_mul_f32_e32 v4, v15, v54
	v_fmac_f32_e32 v18, v5, v53
	v_fma_f32 v21, v14, v53, -v4
	v_mul_f32_e32 v4, v11, v54
	v_fma_f32 v23, v10, v53, -v4
	v_sub_f32_e32 v4, v0, v17
	v_sub_f32_e32 v5, v1, v18
	v_and_or_b32 v17, v16, s12, v73
	v_mul_f32_e32 v20, v6, v54
	v_mul_f32_e32 v22, v14, v54
	;; [unrolled: 1-line block ×3, first 2 shown]
	v_fma_f32 v0, v0, 2.0, -v4
	v_fma_f32 v1, v1, 2.0, -v5
	v_lshlrev_b32_e32 v80, 3, v17
	s_movk_i32 s12, 0x3f0
	v_fmac_f32_e32 v20, v7, v53
	v_fmac_f32_e32 v22, v15, v53
	;; [unrolled: 1-line block ×3, first 2 shown]
	ds_write2_b64 v80, v[0:1], v[4:5] offset1:8
	v_and_or_b32 v0, v74, s12, v73
	s_movk_i32 s12, 0x7f0
	v_sub_f32_e32 v6, v2, v19
	v_sub_f32_e32 v7, v3, v20
	;; [unrolled: 1-line block ×6, first 2 shown]
	v_lshlrev_b32_e32 v81, 3, v0
	v_and_or_b32 v0, v75, s12, v73
	v_fma_f32 v2, v2, 2.0, -v6
	v_fma_f32 v3, v3, 2.0, -v7
	;; [unrolled: 1-line block ×6, first 2 shown]
	v_lshlrev_b32_e32 v82, 3, v0
	ds_write2_b64 v81, v[2:3], v[6:7] offset1:8
	ds_write2_b64 v82, v[12:13], v[14:15] offset1:8
	s_and_saveexec_b64 s[14:15], s[0:1]
	s_cbranch_execz .LBB0_19
; %bb.18:
	v_and_or_b32 v0, v65, s12, v73
	v_lshlrev_b32_e32 v0, 3, v0
	ds_write2_b64 v0, v[8:9], v[10:11] offset1:8
.LBB0_19:
	s_or_b64 exec, exec, s[14:15]
	v_add_u32_e32 v4, 0x1800, v61
	s_waitcnt lgkmcnt(0)
	s_barrier
	ds_read2_b64 v[0:3], v61 offset1:224
	ds_read2_b64 v[4:7], v4 offset0:16 offset1:240
	ds_read_b64 v[12:13], v61 offset:3584
	ds_read_b64 v[14:15], v61 offset:9856
	s_and_saveexec_b64 s[14:15], s[0:1]
	s_cbranch_execz .LBB0_21
; %bb.20:
	ds_read_b64 v[8:9], v61 offset:5376
	ds_read_b64 v[10:11], v61 offset:11648
.LBB0_21:
	s_or_b64 exec, exec, s[14:15]
	v_and_b32_e32 v79, 15, v64
	v_lshlrev_b32_e32 v17, 3, v79
	global_load_dwordx2 v[55:56], v17, s[4:5] offset:112
	s_movk_i32 s12, 0x1e0
	s_waitcnt vmcnt(0) lgkmcnt(0)
	s_barrier
	v_mul_f32_e32 v17, v5, v56
	v_fma_f32 v17, v4, v55, -v17
	v_mul_f32_e32 v18, v4, v56
	v_mul_f32_e32 v4, v7, v56
	v_fma_f32 v19, v6, v55, -v4
	v_mul_f32_e32 v4, v15, v56
	v_fma_f32 v21, v14, v55, -v4
	v_mul_f32_e32 v14, v14, v56
	v_fmac_f32_e32 v18, v5, v55
	v_fmac_f32_e32 v14, v15, v55
	v_mul_f32_e32 v4, v11, v56
	v_mul_f32_e32 v22, v10, v56
	v_fma_f32 v15, v10, v55, -v4
	v_fmac_f32_e32 v22, v11, v55
	v_sub_f32_e32 v4, v0, v17
	v_sub_f32_e32 v5, v1, v18
	v_sub_f32_e32 v11, v13, v14
	v_and_or_b32 v14, v16, s12, v79
	v_mul_f32_e32 v20, v6, v56
	v_fma_f32 v0, v0, 2.0, -v4
	v_fma_f32 v1, v1, 2.0, -v5
	v_lshlrev_b32_e32 v83, 3, v14
	s_movk_i32 s12, 0x3e0
	v_fmac_f32_e32 v20, v7, v55
	ds_write2_b64 v83, v[0:1], v[4:5] offset1:16
	v_and_or_b32 v0, v74, s12, v79
	s_movk_i32 s12, 0x7e0
	v_sub_f32_e32 v6, v2, v19
	v_sub_f32_e32 v7, v3, v20
	;; [unrolled: 1-line block ×3, first 2 shown]
	v_lshlrev_b32_e32 v84, 3, v0
	v_and_or_b32 v0, v75, s12, v79
	v_fma_f32 v2, v2, 2.0, -v6
	v_fma_f32 v3, v3, 2.0, -v7
	;; [unrolled: 1-line block ×4, first 2 shown]
	v_sub_f32_e32 v32, v8, v15
	v_sub_f32_e32 v33, v9, v22
	v_lshlrev_b32_e32 v85, 3, v0
	ds_write2_b64 v84, v[2:3], v[6:7] offset1:16
	ds_write2_b64 v85, v[12:13], v[10:11] offset1:16
	s_and_saveexec_b64 s[14:15], s[0:1]
	s_cbranch_execz .LBB0_23
; %bb.22:
	v_and_or_b32 v2, v65, s12, v79
	v_fma_f32 v1, v9, 2.0, -v33
	v_fma_f32 v0, v8, 2.0, -v32
	v_lshlrev_b32_e32 v2, 3, v2
	ds_write2_b64 v2, v[0:1], v[32:33] offset1:16
.LBB0_23:
	s_or_b64 exec, exec, s[14:15]
	v_and_b32_e32 v26, 31, v64
	v_mad_u64_u32 v[12:13], s[14:15], v26, 48, s[4:5]
	s_waitcnt lgkmcnt(0)
	s_barrier
	global_load_dwordx4 v[8:11], v[12:13], off offset:240
	global_load_dwordx4 v[4:7], v[12:13], off offset:256
	;; [unrolled: 1-line block ×3, first 2 shown]
	v_add_u32_e32 v87, 0xe00, v61
	v_add_u32_e32 v88, 0x1c00, v61
	ds_read2_b64 v[12:15], v61 offset1:224
	ds_read_b64 v[24:25], v61 offset:10752
	ds_read2_b64 v[16:19], v87 offset1:224
	ds_read2_b64 v[20:23], v88 offset1:224
	s_mov_b32 s14, 0x3f3bfb3b
	s_mov_b32 s15, 0xbf3bfb3b
	;; [unrolled: 1-line block ×4, first 2 shown]
	s_waitcnt vmcnt(0) lgkmcnt(0)
	s_barrier
	v_mul_f32_e32 v27, v15, v9
	v_mul_f32_e32 v28, v14, v9
	;; [unrolled: 1-line block ×12, first 2 shown]
	v_fma_f32 v14, v14, v8, -v27
	v_fmac_f32_e32 v28, v15, v8
	v_fma_f32 v15, v16, v10, -v29
	v_fmac_f32_e32 v30, v17, v10
	;; [unrolled: 2-line block ×6, first 2 shown]
	v_add_f32_e32 v20, v14, v19
	v_add_f32_e32 v21, v28, v86
	;; [unrolled: 1-line block ×4, first 2 shown]
	v_sub_f32_e32 v14, v14, v19
	v_sub_f32_e32 v19, v28, v86
	v_add_f32_e32 v24, v16, v17
	v_add_f32_e32 v25, v34, v57
	;; [unrolled: 1-line block ×4, first 2 shown]
	v_sub_f32_e32 v15, v15, v18
	v_sub_f32_e32 v18, v30, v59
	;; [unrolled: 1-line block ×10, first 2 shown]
	v_add_f32_e32 v24, v24, v27
	v_add_f32_e32 v25, v25, v28
	;; [unrolled: 1-line block ×4, first 2 shown]
	v_sub_f32_e32 v35, v16, v15
	v_sub_f32_e32 v57, v17, v18
	;; [unrolled: 1-line block ×4, first 2 shown]
	v_mul_f32_e32 v20, 0x3f4a47b2, v20
	v_mul_f32_e32 v21, 0x3f4a47b2, v21
	;; [unrolled: 1-line block ×4, first 2 shown]
	v_add_f32_e32 v12, v12, v24
	v_add_f32_e32 v13, v13, v25
	v_sub_f32_e32 v16, v14, v16
	v_sub_f32_e32 v17, v19, v17
	v_add_f32_e32 v14, v31, v14
	v_add_f32_e32 v19, v34, v19
	v_mul_f32_e32 v31, 0xbf08b237, v35
	v_mul_f32_e32 v34, 0xbf08b237, v57
	;; [unrolled: 1-line block ×4, first 2 shown]
	v_fma_f32 v27, v29, s14, -v27
	v_fma_f32 v28, v30, s14, -v28
	;; [unrolled: 1-line block ×3, first 2 shown]
	v_fmac_f32_e32 v20, 0x3d64c772, v22
	v_fma_f32 v22, v30, s15, -v21
	v_mov_b32_e32 v30, v12
	v_mov_b32_e32 v58, v13
	v_fmac_f32_e32 v30, 0xbf955555, v24
	v_fmac_f32_e32 v58, 0xbf955555, v25
	v_fma_f32 v25, v16, s16, -v35
	v_fma_f32 v35, v17, s16, -v57
	v_fmac_f32_e32 v21, 0x3d64c772, v23
	v_add_f32_e32 v57, v20, v30
	v_add_f32_e32 v20, v27, v30
	;; [unrolled: 1-line block ×3, first 2 shown]
	v_fmac_f32_e32 v35, 0x3ee1c552, v19
	v_fma_f32 v23, v15, s12, -v31
	v_fmac_f32_e32 v31, 0x3eae86e6, v16
	v_add_f32_e32 v59, v21, v58
	v_add_f32_e32 v21, v28, v58
	;; [unrolled: 1-line block ×4, first 2 shown]
	v_sub_f32_e32 v22, v27, v35
	v_lshrrev_b32_e32 v27, 5, v64
	v_fma_f32 v24, v18, s12, -v34
	v_fmac_f32_e32 v34, 0x3eae86e6, v17
	v_mul_u32_u24_e32 v27, 0xe0, v27
	v_fmac_f32_e32 v31, 0x3ee1c552, v14
	v_fmac_f32_e32 v34, 0x3ee1c552, v19
	;; [unrolled: 1-line block ×5, first 2 shown]
	v_or_b32_e32 v26, v27, v26
	v_add_f32_e32 v14, v34, v57
	v_sub_f32_e32 v15, v59, v31
	v_sub_f32_e32 v17, v28, v25
	;; [unrolled: 1-line block ×3, first 2 shown]
	v_add_f32_e32 v19, v23, v21
	v_add_f32_e32 v20, v24, v20
	v_sub_f32_e32 v21, v21, v23
	v_add_f32_e32 v23, v25, v28
	v_sub_f32_e32 v24, v57, v34
	v_add_f32_e32 v25, v31, v59
	v_lshlrev_b32_e32 v86, 3, v26
	ds_write2_b64 v86, v[12:13], v[14:15] offset1:32
	ds_write2_b64 v86, v[16:17], v[18:19] offset0:64 offset1:96
	ds_write2_b64 v86, v[20:21], v[22:23] offset0:128 offset1:160
	ds_write_b64 v86, v[24:25] offset:1536
	v_mad_u64_u32 v[24:25], s[4:5], v64, 48, s[4:5]
	s_waitcnt lgkmcnt(0)
	s_barrier
	global_load_dwordx4 v[20:23], v[24:25], off offset:1776
	global_load_dwordx4 v[16:19], v[24:25], off offset:1792
	;; [unrolled: 1-line block ×3, first 2 shown]
	v_mov_b32_e32 v28, s13
	ds_read2_b64 v[24:27], v61 offset1:224
	v_addc_co_u32_e64 v91, vcc, 0, v28, s[2:3]
	ds_read2_b64 v[28:31], v87 offset1:224
	ds_read2_b64 v[57:60], v88 offset1:224
	ds_read_b64 v[34:35], v61 offset:10752
	s_movk_i32 s2, 0x3000
	s_movk_i32 s3, 0x4000
	s_waitcnt vmcnt(2) lgkmcnt(3)
	v_mul_f32_e32 v89, v27, v21
	v_mul_f32_e32 v90, v26, v21
	s_waitcnt lgkmcnt(2)
	v_mul_f32_e32 v92, v29, v23
	s_waitcnt vmcnt(1)
	v_mul_f32_e32 v94, v31, v17
	v_mul_f32_e32 v95, v30, v17
	s_waitcnt vmcnt(0) lgkmcnt(1)
	v_mul_f32_e32 v98, v60, v13
	s_waitcnt lgkmcnt(0)
	v_mul_f32_e32 v100, v35, v15
	v_mul_f32_e32 v93, v28, v23
	;; [unrolled: 1-line block ×5, first 2 shown]
	v_fma_f32 v26, v26, v20, -v89
	v_fmac_f32_e32 v90, v27, v20
	v_fma_f32 v27, v28, v22, -v92
	v_fma_f32 v28, v30, v16, -v94
	v_fmac_f32_e32 v95, v31, v16
	v_fma_f32 v30, v59, v12, -v98
	v_fma_f32 v31, v34, v14, -v100
	v_mul_f32_e32 v97, v57, v19
	v_fmac_f32_e32 v93, v29, v22
	v_fma_f32 v29, v57, v18, -v96
	v_fmac_f32_e32 v99, v60, v12
	v_fmac_f32_e32 v101, v35, v14
	v_add_f32_e32 v34, v26, v31
	v_add_f32_e32 v57, v27, v30
	v_fmac_f32_e32 v97, v58, v18
	v_add_f32_e32 v35, v90, v101
	v_add_f32_e32 v58, v93, v99
	;; [unrolled: 1-line block ×4, first 2 shown]
	v_sub_f32_e32 v26, v26, v31
	v_sub_f32_e32 v31, v90, v101
	v_add_f32_e32 v60, v95, v97
	v_add_f32_e32 v90, v58, v35
	v_sub_f32_e32 v92, v57, v34
	v_sub_f32_e32 v34, v34, v59
	;; [unrolled: 1-line block ×3, first 2 shown]
	v_add_f32_e32 v59, v59, v89
	v_sub_f32_e32 v27, v27, v30
	v_sub_f32_e32 v30, v93, v99
	;; [unrolled: 1-line block ×7, first 2 shown]
	v_add_f32_e32 v60, v60, v90
	v_add_f32_e32 v24, v24, v59
	;; [unrolled: 1-line block ×4, first 2 shown]
	v_sub_f32_e32 v96, v28, v27
	v_sub_f32_e32 v97, v29, v30
	v_add_f32_e32 v25, v25, v60
	v_mov_b32_e32 v98, v24
	v_sub_f32_e32 v28, v26, v28
	v_sub_f32_e32 v29, v31, v29
	;; [unrolled: 1-line block ×4, first 2 shown]
	v_add_f32_e32 v26, v94, v26
	v_add_f32_e32 v31, v95, v31
	v_mul_f32_e32 v34, 0x3f4a47b2, v34
	v_mul_f32_e32 v35, 0x3f4a47b2, v35
	;; [unrolled: 1-line block ×6, first 2 shown]
	v_fmac_f32_e32 v98, 0xbf955555, v59
	v_mov_b32_e32 v59, v25
	v_mul_f32_e32 v96, 0x3f5ff5aa, v27
	v_mul_f32_e32 v97, 0x3f5ff5aa, v30
	v_fmac_f32_e32 v59, 0xbf955555, v60
	v_fma_f32 v60, v92, s14, -v89
	v_fma_f32 v89, v93, s14, -v90
	;; [unrolled: 1-line block ×3, first 2 shown]
	v_fmac_f32_e32 v34, 0x3d64c772, v57
	v_fma_f32 v57, v93, s15, -v35
	v_fmac_f32_e32 v35, 0x3d64c772, v58
	v_fma_f32 v58, v27, s12, -v94
	;; [unrolled: 2-line block ×4, first 2 shown]
	v_fma_f32 v96, v29, s16, -v97
	v_add_f32_e32 v34, v34, v98
	v_add_f32_e32 v35, v35, v59
	v_fmac_f32_e32 v94, 0x3ee1c552, v26
	v_fmac_f32_e32 v95, 0x3ee1c552, v31
	v_add_f32_e32 v60, v60, v98
	v_add_f32_e32 v89, v89, v59
	;; [unrolled: 1-line block ×4, first 2 shown]
	v_fmac_f32_e32 v58, 0x3ee1c552, v26
	v_fmac_f32_e32 v92, 0x3ee1c552, v31
	;; [unrolled: 1-line block ×4, first 2 shown]
	v_add_f32_e32 v26, v95, v34
	v_sub_f32_e32 v27, v35, v94
	v_add_f32_e32 v28, v96, v90
	v_sub_f32_e32 v29, v97, v93
	v_sub_f32_e32 v30, v60, v92
	v_add_f32_e32 v31, v58, v89
	v_add_f32_e32 v57, v92, v60
	v_sub_f32_e32 v58, v89, v58
	v_sub_f32_e32 v59, v90, v96
	v_add_f32_e32 v60, v93, v97
	v_sub_f32_e32 v34, v34, v95
	v_add_f32_e32 v35, v94, v35
	ds_write2_b64 v61, v[24:25], v[26:27] offset1:224
	ds_write2_b64 v87, v[28:29], v[30:31] offset1:224
	;; [unrolled: 1-line block ×3, first 2 shown]
	ds_write_b64 v61, v[34:35] offset:10752
	v_add_co_u32_e32 v24, vcc, s2, v62
	v_addc_co_u32_e32 v25, vcc, 0, v91, vcc
	s_waitcnt lgkmcnt(0)
	s_barrier
	global_load_dwordx2 v[57:58], v[24:25], off offset:256
	v_add_co_u32_e32 v24, vcc, s3, v62
	s_movk_i32 s2, 0x3100
	v_addc_co_u32_e32 v25, vcc, 0, v91, vcc
	global_load_dwordx2 v[87:88], v[24:25], off offset:2432
	v_add_co_u32_e32 v24, vcc, s2, v62
	v_addc_co_u32_e32 v25, vcc, 0, v91, vcc
	global_load_dwordx2 v[89:90], v[24:25], off offset:1792
	s_movk_i32 s2, 0x5000
	v_add_co_u32_e32 v26, vcc, s2, v62
	v_addc_co_u32_e32 v27, vcc, 0, v91, vcc
	global_load_dwordx2 v[91:92], v[26:27], off offset:128
	global_load_dwordx2 v[93:94], v[24:25], off offset:3584
	;; [unrolled: 1-line block ×3, first 2 shown]
	ds_read2_b64 v[27:30], v61 offset1:224
	s_waitcnt vmcnt(5) lgkmcnt(0)
	v_mul_f32_e32 v26, v28, v58
	v_fma_f32 v26, v27, v57, -v26
	v_mul_f32_e32 v27, v27, v58
	v_fmac_f32_e32 v27, v28, v57
	ds_write_b64 v61, v[26:27]
	v_add_u32_e32 v28, 0x1800, v61
	ds_read2_b64 v[57:60], v28 offset0:16 offset1:240
	s_waitcnt vmcnt(4) lgkmcnt(0)
	v_mul_f32_e32 v27, v57, v88
	v_mul_f32_e32 v26, v58, v88
	v_fmac_f32_e32 v27, v58, v87
	s_waitcnt vmcnt(3)
	v_mul_f32_e32 v31, v30, v90
	v_mul_f32_e32 v58, v29, v90
	v_fma_f32 v26, v57, v87, -v26
	v_fma_f32 v57, v29, v89, -v31
	v_fmac_f32_e32 v58, v30, v89
	s_waitcnt vmcnt(2)
	v_mul_f32_e32 v29, v60, v92
	ds_read_b64 v[87:88], v61 offset:3584
	v_mul_f32_e32 v30, v59, v92
	v_fma_f32 v29, v59, v91, -v29
	v_fmac_f32_e32 v30, v60, v91
	ds_write2_b64 v28, v[26:27], v[29:30] offset0:16 offset1:240
	ds_read_b64 v[26:27], v61 offset:9856
	s_waitcnt vmcnt(1) lgkmcnt(2)
	v_mul_f32_e32 v29, v88, v94
	v_mul_f32_e32 v30, v87, v94
	v_fma_f32 v29, v87, v93, -v29
	v_fmac_f32_e32 v30, v88, v93
	v_add_u32_e32 v31, 0x700, v61
	ds_write2_b64 v31, v[57:58], v[29:30] offset1:224
	s_waitcnt vmcnt(0) lgkmcnt(1)
	v_mul_f32_e32 v29, v27, v96
	v_mul_f32_e32 v30, v26, v96
	v_fma_f32 v29, v26, v95, -v29
	v_fmac_f32_e32 v30, v27, v95
	ds_write_b64 v61, v[29:30] offset:9856
	s_and_saveexec_b64 s[2:3], s[0:1]
	s_cbranch_execz .LBB0_25
; %bb.24:
	v_add_co_u32_e32 v26, vcc, 0x1000, v24
	v_addc_co_u32_e32 v27, vcc, 0, v25, vcc
	v_add_co_u32_e32 v24, vcc, 0x2000, v24
	global_load_dwordx2 v[26:27], v[26:27], off offset:1280
	v_addc_co_u32_e32 v25, vcc, 0, v25, vcc
	global_load_dwordx2 v[24:25], v[24:25], off offset:3456
	ds_read_b64 v[29:30], v61 offset:5376
	ds_read_b64 v[57:58], v61 offset:11648
	s_waitcnt vmcnt(1) lgkmcnt(1)
	v_mul_f32_e32 v31, v30, v27
	v_mul_f32_e32 v60, v29, v27
	v_fma_f32 v59, v29, v26, -v31
	v_fmac_f32_e32 v60, v30, v26
	s_waitcnt vmcnt(0) lgkmcnt(0)
	v_mul_f32_e32 v27, v58, v25
	v_mul_f32_e32 v26, v57, v25
	v_fma_f32 v25, v57, v24, -v27
	v_fmac_f32_e32 v26, v58, v24
	ds_write_b64 v61, v[59:60] offset:5376
	ds_write_b64 v61, v[25:26] offset:11648
.LBB0_25:
	s_or_b64 exec, exec, s[2:3]
	s_waitcnt lgkmcnt(0)
	s_barrier
	ds_read2_b64 v[24:27], v61 offset1:224
	ds_read2_b64 v[28:31], v28 offset0:16 offset1:240
	ds_read_b64 v[57:58], v61 offset:3584
	ds_read_b64 v[59:60], v61 offset:9856
	v_lshlrev_b32_e32 v87, 3, v74
	v_lshlrev_b32_e32 v74, 3, v75
	s_and_saveexec_b64 s[2:3], s[0:1]
	s_cbranch_execz .LBB0_27
; %bb.26:
	ds_read_b64 v[34:35], v61 offset:5376
	ds_read_b64 v[32:33], v61 offset:11648
.LBB0_27:
	s_or_b64 exec, exec, s[2:3]
	s_waitcnt lgkmcnt(2)
	v_sub_f32_e32 v30, v26, v30
	v_sub_f32_e32 v31, v27, v31
	;; [unrolled: 1-line block ×4, first 2 shown]
	v_fma_f32 v28, v26, 2.0, -v30
	v_fma_f32 v29, v27, 2.0, -v31
	s_waitcnt lgkmcnt(0)
	v_sub_f32_e32 v26, v34, v32
	v_sub_f32_e32 v27, v35, v33
	v_fma_f32 v88, v24, 2.0, -v90
	v_fma_f32 v89, v25, 2.0, -v91
	v_sub_f32_e32 v59, v57, v59
	v_sub_f32_e32 v60, v58, v60
	v_fma_f32 v24, v34, 2.0, -v26
	v_fma_f32 v25, v35, 2.0, -v27
	;; [unrolled: 1-line block ×4, first 2 shown]
	s_barrier
	ds_write_b128 v68, v[88:91]
	ds_write_b128 v87, v[28:31]
	;; [unrolled: 1-line block ×3, first 2 shown]
	s_and_saveexec_b64 s[2:3], s[0:1]
	s_cbranch_execz .LBB0_29
; %bb.28:
	ds_write_b128 v67, v[24:27]
.LBB0_29:
	s_or_b64 exec, exec, s[2:3]
	v_add_u32_e32 v32, 0x1800, v61
	s_waitcnt lgkmcnt(0)
	s_barrier
	ds_read2_b64 v[28:31], v61 offset1:224
	ds_read2_b64 v[32:35], v32 offset0:16 offset1:240
	ds_read_b64 v[57:58], v61 offset:3584
	ds_read_b64 v[59:60], v61 offset:9856
	s_and_saveexec_b64 s[2:3], s[0:1]
	s_cbranch_execz .LBB0_31
; %bb.30:
	ds_read_b64 v[24:25], v61 offset:5376
	ds_read_b64 v[26:27], v61 offset:11648
.LBB0_31:
	s_or_b64 exec, exec, s[2:3]
	s_waitcnt lgkmcnt(2)
	v_mul_f32_e32 v67, v50, v33
	v_fmac_f32_e32 v67, v49, v32
	v_mul_f32_e32 v32, v50, v32
	v_fma_f32 v32, v49, v33, -v32
	v_mul_f32_e32 v33, v50, v35
	v_fmac_f32_e32 v33, v49, v34
	v_mul_f32_e32 v34, v50, v34
	s_waitcnt lgkmcnt(0)
	v_mul_f32_e32 v68, v50, v27
	v_fma_f32 v34, v49, v35, -v34
	v_mul_f32_e32 v35, v50, v60
	v_fmac_f32_e32 v68, v49, v26
	v_mul_f32_e32 v26, v50, v26
	v_fmac_f32_e32 v35, v49, v59
	v_mul_f32_e32 v59, v50, v59
	v_fma_f32 v74, v49, v27, -v26
	v_fma_f32 v60, v49, v60, -v59
	v_sub_f32_e32 v26, v28, v67
	v_sub_f32_e32 v27, v29, v32
	;; [unrolled: 1-line block ×6, first 2 shown]
	v_fma_f32 v28, v28, 2.0, -v26
	v_fma_f32 v29, v29, 2.0, -v27
	v_sub_f32_e32 v49, v30, v33
	v_sub_f32_e32 v60, v58, v60
	v_fma_f32 v32, v24, 2.0, -v34
	v_fma_f32 v33, v25, 2.0, -v35
	;; [unrolled: 1-line block ×6, first 2 shown]
	s_barrier
	ds_write2_b64 v72, v[28:29], v[26:27] offset1:2
	ds_write2_b64 v71, v[30:31], v[49:50] offset1:2
	;; [unrolled: 1-line block ×3, first 2 shown]
	s_and_saveexec_b64 s[2:3], s[0:1]
	s_cbranch_execz .LBB0_33
; %bb.32:
	s_movk_i32 s4, 0x7fc
	v_and_or_b32 v24, v65, s4, v66
	v_lshlrev_b32_e32 v24, 3, v24
	ds_write2_b64 v24, v[32:33], v[34:35] offset1:2
.LBB0_33:
	s_or_b64 exec, exec, s[2:3]
	v_add_u32_e32 v28, 0x1800, v61
	s_waitcnt lgkmcnt(0)
	s_barrier
	ds_read2_b64 v[24:27], v61 offset1:224
	ds_read2_b64 v[28:31], v28 offset0:16 offset1:240
	ds_read_b64 v[49:50], v61 offset:3584
	ds_read_b64 v[57:58], v61 offset:9856
	s_and_saveexec_b64 s[2:3], s[0:1]
	s_cbranch_execz .LBB0_35
; %bb.34:
	ds_read_b64 v[32:33], v61 offset:5376
	ds_read_b64 v[34:35], v61 offset:11648
.LBB0_35:
	s_or_b64 exec, exec, s[2:3]
	s_waitcnt lgkmcnt(2)
	v_mul_f32_e32 v59, v52, v29
	v_fmac_f32_e32 v59, v51, v28
	v_mul_f32_e32 v28, v52, v28
	v_fma_f32 v29, v51, v29, -v28
	v_mul_f32_e32 v28, v52, v30
	v_mul_f32_e32 v60, v52, v31
	v_fma_f32 v31, v51, v31, -v28
	s_waitcnt lgkmcnt(0)
	v_mul_f32_e32 v66, v52, v58
	v_mul_f32_e32 v28, v52, v57
	v_fmac_f32_e32 v66, v51, v57
	v_fma_f32 v57, v51, v58, -v28
	v_mul_f32_e32 v58, v52, v35
	v_mul_f32_e32 v28, v52, v34
	v_fmac_f32_e32 v58, v51, v34
	v_fma_f32 v35, v51, v35, -v28
	v_fmac_f32_e32 v60, v51, v30
	v_sub_f32_e32 v28, v24, v59
	v_sub_f32_e32 v29, v25, v29
	;; [unrolled: 1-line block ×4, first 2 shown]
	v_fma_f32 v24, v24, 2.0, -v28
	v_fma_f32 v25, v25, 2.0, -v29
	v_sub_f32_e32 v30, v26, v60
	v_sub_f32_e32 v31, v27, v31
	;; [unrolled: 1-line block ×4, first 2 shown]
	v_fma_f32 v32, v32, 2.0, -v34
	v_fma_f32 v33, v33, 2.0, -v35
	;; [unrolled: 1-line block ×6, first 2 shown]
	s_barrier
	ds_write2_b64 v78, v[24:25], v[28:29] offset1:4
	ds_write2_b64 v77, v[26:27], v[30:31] offset1:4
	;; [unrolled: 1-line block ×3, first 2 shown]
	s_and_saveexec_b64 s[2:3], s[0:1]
	s_cbranch_execz .LBB0_37
; %bb.36:
	s_movk_i32 s4, 0x7f8
	v_and_or_b32 v24, v65, s4, v69
	v_lshlrev_b32_e32 v24, 3, v24
	ds_write2_b64 v24, v[32:33], v[34:35] offset1:4
.LBB0_37:
	s_or_b64 exec, exec, s[2:3]
	v_add_u32_e32 v28, 0x1800, v61
	s_waitcnt lgkmcnt(0)
	s_barrier
	ds_read2_b64 v[24:27], v61 offset1:224
	ds_read2_b64 v[28:31], v28 offset0:16 offset1:240
	ds_read_b64 v[49:50], v61 offset:3584
	ds_read_b64 v[51:52], v61 offset:9856
	s_and_saveexec_b64 s[2:3], s[0:1]
	s_cbranch_execz .LBB0_39
; %bb.38:
	ds_read_b64 v[32:33], v61 offset:5376
	ds_read_b64 v[34:35], v61 offset:11648
.LBB0_39:
	s_or_b64 exec, exec, s[2:3]
	s_waitcnt lgkmcnt(2)
	v_mul_f32_e32 v57, v54, v29
	v_fmac_f32_e32 v57, v53, v28
	v_mul_f32_e32 v28, v54, v28
	v_fma_f32 v29, v53, v29, -v28
	v_mul_f32_e32 v28, v54, v30
	v_mul_f32_e32 v58, v54, v31
	v_fma_f32 v31, v53, v31, -v28
	s_waitcnt lgkmcnt(0)
	v_mul_f32_e32 v28, v54, v51
	v_mul_f32_e32 v59, v54, v52
	v_fma_f32 v52, v53, v52, -v28
	v_mul_f32_e32 v60, v54, v35
	v_mul_f32_e32 v28, v54, v34
	v_fmac_f32_e32 v60, v53, v34
	v_fma_f32 v35, v53, v35, -v28
	v_fmac_f32_e32 v58, v53, v30
	v_fmac_f32_e32 v59, v53, v51
	v_sub_f32_e32 v28, v24, v57
	v_sub_f32_e32 v29, v25, v29
	;; [unrolled: 1-line block ×4, first 2 shown]
	v_fma_f32 v24, v24, 2.0, -v28
	v_fma_f32 v25, v25, 2.0, -v29
	v_sub_f32_e32 v30, v26, v58
	v_sub_f32_e32 v31, v27, v31
	;; [unrolled: 1-line block ×4, first 2 shown]
	v_fma_f32 v32, v32, 2.0, -v34
	v_fma_f32 v33, v33, 2.0, -v35
	v_fma_f32 v26, v26, 2.0, -v30
	v_fma_f32 v27, v27, 2.0, -v31
	v_fma_f32 v49, v49, 2.0, -v51
	v_fma_f32 v50, v50, 2.0, -v52
	s_barrier
	ds_write2_b64 v80, v[24:25], v[28:29] offset1:8
	ds_write2_b64 v81, v[26:27], v[30:31] offset1:8
	;; [unrolled: 1-line block ×3, first 2 shown]
	s_and_saveexec_b64 s[2:3], s[0:1]
	s_cbranch_execz .LBB0_41
; %bb.40:
	s_movk_i32 s4, 0x7f0
	v_and_or_b32 v24, v65, s4, v73
	v_lshlrev_b32_e32 v24, 3, v24
	ds_write2_b64 v24, v[32:33], v[34:35] offset1:8
.LBB0_41:
	s_or_b64 exec, exec, s[2:3]
	v_add_u32_e32 v28, 0x1800, v61
	s_waitcnt lgkmcnt(0)
	s_barrier
	ds_read2_b64 v[24:27], v61 offset1:224
	ds_read2_b64 v[28:31], v28 offset0:16 offset1:240
	ds_read_b64 v[49:50], v61 offset:3584
	ds_read_b64 v[51:52], v61 offset:9856
	s_and_saveexec_b64 s[2:3], s[0:1]
	s_cbranch_execz .LBB0_43
; %bb.42:
	ds_read_b64 v[32:33], v61 offset:5376
	ds_read_b64 v[34:35], v61 offset:11648
.LBB0_43:
	s_or_b64 exec, exec, s[2:3]
	s_waitcnt lgkmcnt(2)
	v_mul_f32_e32 v53, v56, v29
	v_fmac_f32_e32 v53, v55, v28
	v_mul_f32_e32 v28, v56, v28
	v_fma_f32 v29, v55, v29, -v28
	v_mul_f32_e32 v28, v56, v30
	v_mul_f32_e32 v54, v56, v31
	v_fma_f32 v31, v55, v31, -v28
	s_waitcnt lgkmcnt(0)
	v_mul_f32_e32 v57, v56, v52
	v_mul_f32_e32 v28, v56, v51
	v_fmac_f32_e32 v54, v55, v30
	v_fmac_f32_e32 v57, v55, v51
	v_fma_f32 v52, v55, v52, -v28
	v_sub_f32_e32 v28, v24, v53
	v_sub_f32_e32 v29, v25, v29
	v_fma_f32 v24, v24, 2.0, -v28
	v_fma_f32 v25, v25, 2.0, -v29
	v_sub_f32_e32 v30, v26, v54
	v_sub_f32_e32 v31, v27, v31
	;; [unrolled: 1-line block ×4, first 2 shown]
	v_fma_f32 v26, v26, 2.0, -v30
	v_fma_f32 v27, v27, 2.0, -v31
	;; [unrolled: 1-line block ×4, first 2 shown]
	s_barrier
	ds_write2_b64 v83, v[24:25], v[28:29] offset1:16
	ds_write2_b64 v84, v[26:27], v[30:31] offset1:16
	;; [unrolled: 1-line block ×3, first 2 shown]
	s_and_saveexec_b64 s[2:3], s[0:1]
	s_cbranch_execz .LBB0_45
; %bb.44:
	v_mul_f32_e32 v24, v56, v34
	v_fma_f32 v24, v55, v35, -v24
	v_sub_f32_e32 v25, v33, v24
	v_mul_f32_e32 v24, v56, v35
	v_fmac_f32_e32 v24, v55, v34
	s_movk_i32 s4, 0x7e0
	v_sub_f32_e32 v24, v32, v24
	v_and_or_b32 v28, v65, s4, v79
	v_fma_f32 v27, v33, 2.0, -v25
	v_fma_f32 v26, v32, 2.0, -v24
	v_lshlrev_b32_e32 v28, 3, v28
	ds_write2_b64 v28, v[26:27], v[24:25] offset1:16
.LBB0_45:
	s_or_b64 exec, exec, s[2:3]
	s_waitcnt lgkmcnt(0)
	s_barrier
	ds_read2_b64 v[24:27], v61 offset1:224
	v_add_u32_e32 v51, 0xe00, v61
	ds_read2_b64 v[28:31], v51 offset1:224
	v_add_u32_e32 v52, 0x1c00, v61
	ds_read2_b64 v[32:35], v52 offset1:224
	ds_read_b64 v[49:50], v61 offset:10752
	s_waitcnt lgkmcnt(3)
	v_mul_f32_e32 v53, v9, v27
	v_mul_f32_e32 v9, v9, v26
	v_fmac_f32_e32 v53, v8, v26
	v_fma_f32 v8, v8, v27, -v9
	s_waitcnt lgkmcnt(2)
	v_mul_f32_e32 v9, v11, v29
	v_mul_f32_e32 v11, v11, v28
	v_fmac_f32_e32 v9, v10, v28
	v_fma_f32 v10, v10, v29, -v11
	v_mul_f32_e32 v11, v5, v31
	v_mul_f32_e32 v5, v5, v30
	v_fmac_f32_e32 v11, v4, v30
	v_fma_f32 v4, v4, v31, -v5
	s_waitcnt lgkmcnt(1)
	v_mul_f32_e32 v5, v7, v33
	v_mul_f32_e32 v7, v7, v32
	v_fmac_f32_e32 v5, v6, v32
	v_fma_f32 v6, v6, v33, -v7
	;; [unrolled: 9-line block ×3, first 2 shown]
	v_add_f32_e32 v3, v53, v1
	v_add_f32_e32 v26, v8, v2
	v_sub_f32_e32 v2, v8, v2
	v_add_f32_e32 v8, v9, v7
	v_add_f32_e32 v27, v10, v0
	v_sub_f32_e32 v7, v9, v7
	v_sub_f32_e32 v0, v10, v0
	v_add_f32_e32 v9, v11, v5
	v_add_f32_e32 v10, v4, v6
	v_sub_f32_e32 v4, v6, v4
	v_add_f32_e32 v6, v8, v3
	v_sub_f32_e32 v5, v5, v11
	v_add_f32_e32 v11, v27, v26
	v_add_f32_e32 v6, v9, v6
	v_sub_f32_e32 v1, v53, v1
	v_sub_f32_e32 v28, v8, v3
	;; [unrolled: 1-line block ×4, first 2 shown]
	v_add_f32_e32 v30, v5, v7
	v_add_f32_e32 v31, v4, v0
	v_sub_f32_e32 v33, v4, v0
	v_sub_f32_e32 v34, v0, v2
	v_add_f32_e32 v9, v10, v11
	v_add_f32_e32 v0, v24, v6
	v_sub_f32_e32 v29, v27, v26
	v_sub_f32_e32 v26, v26, v10
	;; [unrolled: 1-line block ×6, first 2 shown]
	v_add_f32_e32 v10, v30, v1
	v_add_f32_e32 v1, v25, v9
	v_mul_f32_e32 v30, 0x3f08b237, v33
	v_mov_b32_e32 v33, v0
	v_sub_f32_e32 v4, v2, v4
	v_add_f32_e32 v2, v31, v2
	v_mul_f32_e32 v3, 0x3f4a47b2, v3
	v_mul_f32_e32 v11, 0x3f4a47b2, v26
	;; [unrolled: 1-line block ×5, first 2 shown]
	s_mov_b32 s2, 0xbf5ff5aa
	v_mul_f32_e32 v31, 0xbf5ff5aa, v7
	v_mul_f32_e32 v32, 0xbf5ff5aa, v34
	v_fmac_f32_e32 v33, 0xbf955555, v6
	v_mov_b32_e32 v6, v1
	s_mov_b32 s3, 0x3f3bfb3b
	s_mov_b32 s4, 0xbf3bfb3b
	s_mov_b32 s5, 0x3eae86e6
	v_fmac_f32_e32 v6, 0xbf955555, v9
	v_fma_f32 v9, v28, s3, -v24
	v_fma_f32 v24, v29, s3, -v25
	;; [unrolled: 1-line block ×3, first 2 shown]
	v_fmac_f32_e32 v3, 0x3d64c772, v8
	v_fma_f32 v8, v29, s4, -v11
	v_fmac_f32_e32 v11, 0x3d64c772, v27
	v_fma_f32 v27, v7, s2, -v26
	;; [unrolled: 2-line block ×4, first 2 shown]
	v_fma_f32 v31, v4, s5, -v32
	v_add_f32_e32 v32, v3, v33
	v_add_f32_e32 v34, v11, v6
	;; [unrolled: 1-line block ×6, first 2 shown]
	v_fmac_f32_e32 v26, 0xbee1c552, v10
	v_fmac_f32_e32 v30, 0xbee1c552, v2
	v_fmac_f32_e32 v27, 0xbee1c552, v10
	v_fmac_f32_e32 v28, 0xbee1c552, v2
	v_fmac_f32_e32 v29, 0xbee1c552, v10
	v_fmac_f32_e32 v31, 0xbee1c552, v2
	v_add_f32_e32 v2, v30, v32
	v_sub_f32_e32 v3, v34, v26
	v_add_f32_e32 v4, v31, v24
	v_sub_f32_e32 v5, v25, v29
	v_sub_f32_e32 v6, v9, v28
	v_add_f32_e32 v7, v27, v11
	v_add_f32_e32 v8, v28, v9
	v_sub_f32_e32 v9, v11, v27
	v_sub_f32_e32 v10, v24, v31
	v_add_f32_e32 v11, v29, v25
	v_sub_f32_e32 v24, v32, v30
	v_add_f32_e32 v25, v26, v34
	s_barrier
	ds_write2_b64 v86, v[0:1], v[2:3] offset1:32
	ds_write2_b64 v86, v[4:5], v[6:7] offset0:64 offset1:96
	ds_write2_b64 v86, v[8:9], v[10:11] offset0:128 offset1:160
	ds_write_b64 v86, v[24:25] offset:1536
	s_waitcnt lgkmcnt(0)
	s_barrier
	ds_read2_b64 v[0:3], v61 offset1:224
	ds_read2_b64 v[4:7], v51 offset1:224
	ds_read2_b64 v[8:11], v52 offset1:224
	ds_read_b64 v[24:25], v61 offset:10752
	s_waitcnt lgkmcnt(3)
	v_mul_f32_e32 v26, v21, v3
	v_fmac_f32_e32 v26, v20, v2
	v_mul_f32_e32 v2, v21, v2
	v_fma_f32 v2, v20, v3, -v2
	s_waitcnt lgkmcnt(2)
	v_mul_f32_e32 v3, v23, v5
	v_fmac_f32_e32 v3, v22, v4
	v_mul_f32_e32 v4, v23, v4
	v_fma_f32 v4, v22, v5, -v4
	v_mul_f32_e32 v5, v17, v7
	v_fmac_f32_e32 v5, v16, v6
	v_mul_f32_e32 v6, v17, v6
	v_fma_f32 v6, v16, v7, -v6
	s_waitcnt lgkmcnt(1)
	v_mul_f32_e32 v7, v19, v9
	v_fmac_f32_e32 v7, v18, v8
	v_mul_f32_e32 v8, v19, v8
	v_fma_f32 v8, v18, v9, -v8
	v_mul_f32_e32 v9, v13, v11
	v_fmac_f32_e32 v9, v12, v10
	v_mul_f32_e32 v10, v13, v10
	v_fma_f32 v10, v12, v11, -v10
	s_waitcnt lgkmcnt(0)
	v_mul_f32_e32 v11, v15, v25
	v_mul_f32_e32 v12, v15, v24
	v_fmac_f32_e32 v11, v14, v24
	v_fma_f32 v12, v14, v25, -v12
	v_add_f32_e32 v13, v26, v11
	v_add_f32_e32 v14, v2, v12
	v_sub_f32_e32 v2, v2, v12
	v_add_f32_e32 v12, v3, v9
	v_add_f32_e32 v15, v4, v10
	v_sub_f32_e32 v3, v3, v9
	v_add_f32_e32 v9, v5, v7
	v_sub_f32_e32 v5, v7, v5
	;; [unrolled: 2-line block ×4, first 2 shown]
	v_add_f32_e32 v8, v15, v14
	v_add_f32_e32 v7, v9, v7
	;; [unrolled: 1-line block ×4, first 2 shown]
	v_sub_f32_e32 v11, v26, v11
	v_sub_f32_e32 v16, v12, v13
	;; [unrolled: 1-line block ×7, first 2 shown]
	v_add_f32_e32 v18, v5, v3
	v_add_f32_e32 v19, v6, v4
	v_sub_f32_e32 v20, v5, v3
	v_sub_f32_e32 v21, v6, v4
	v_add_f32_e32 v1, v1, v8
	v_mov_b32_e32 v22, v0
	v_sub_f32_e32 v5, v11, v5
	v_sub_f32_e32 v6, v2, v6
	;; [unrolled: 1-line block ×4, first 2 shown]
	v_add_f32_e32 v9, v18, v11
	v_add_f32_e32 v2, v19, v2
	v_mul_f32_e32 v10, 0x3f4a47b2, v13
	v_mul_f32_e32 v11, 0x3f4a47b2, v14
	;; [unrolled: 1-line block ×6, first 2 shown]
	v_fmac_f32_e32 v22, 0xbf955555, v7
	v_mov_b32_e32 v7, v1
	v_mul_f32_e32 v20, 0xbf5ff5aa, v3
	v_mul_f32_e32 v21, 0xbf5ff5aa, v4
	v_fmac_f32_e32 v7, 0xbf955555, v8
	v_fma_f32 v8, v16, s3, -v13
	v_fma_f32 v13, v17, s3, -v14
	;; [unrolled: 1-line block ×3, first 2 shown]
	v_fmac_f32_e32 v10, 0x3d64c772, v12
	v_fma_f32 v12, v17, s4, -v11
	v_fmac_f32_e32 v11, 0x3d64c772, v15
	v_fma_f32 v15, v3, s2, -v18
	;; [unrolled: 2-line block ×4, first 2 shown]
	v_fma_f32 v20, v6, s5, -v21
	v_add_f32_e32 v21, v10, v22
	v_add_f32_e32 v23, v11, v7
	v_fmac_f32_e32 v18, 0xbee1c552, v9
	v_fmac_f32_e32 v19, 0xbee1c552, v2
	v_add_f32_e32 v8, v8, v22
	v_add_f32_e32 v10, v13, v7
	;; [unrolled: 1-line block ×4, first 2 shown]
	v_fmac_f32_e32 v15, 0xbee1c552, v9
	v_fmac_f32_e32 v16, 0xbee1c552, v2
	;; [unrolled: 1-line block ×4, first 2 shown]
	v_add_f32_e32 v2, v19, v21
	v_sub_f32_e32 v3, v23, v18
	v_add_f32_e32 v4, v20, v11
	v_sub_f32_e32 v5, v12, v17
	v_sub_f32_e32 v6, v8, v16
	v_add_f32_e32 v7, v15, v10
	v_add_f32_e32 v8, v16, v8
	v_sub_f32_e32 v9, v10, v15
	v_sub_f32_e32 v10, v11, v20
	v_add_f32_e32 v11, v17, v12
	v_sub_f32_e32 v12, v21, v19
	v_add_f32_e32 v13, v18, v23
	ds_write2_b64 v61, v[0:1], v[2:3] offset1:224
	ds_write2_b64 v51, v[4:5], v[6:7] offset1:224
	;; [unrolled: 1-line block ×3, first 2 shown]
	ds_write_b64 v61, v[12:13] offset:10752
	s_waitcnt lgkmcnt(0)
	s_barrier
	ds_read2_b64 v[0:3], v61 offset1:224
	v_mad_u64_u32 v[8:9], s[2:3], s10, v38, 0
	s_mov_b32 s2, 0xa72f0539
	s_mov_b32 s3, 0x3f44e5e0
	s_waitcnt lgkmcnt(0)
	v_mul_f32_e32 v4, v48, v1
	v_fmac_f32_e32 v4, v47, v0
	v_cvt_f64_f32_e32 v[4:5], v4
	v_mul_f32_e32 v0, v48, v0
	v_fma_f32 v0, v47, v1, -v0
	v_cvt_f64_f32_e32 v[0:1], v0
	v_mul_f64 v[4:5], v[4:5], s[2:3]
	v_mad_u64_u32 v[10:11], s[4:5], s8, v64, 0
	v_mov_b32_e32 v6, v9
	v_mad_u64_u32 v[6:7], s[4:5], s11, v38, v[6:7]
	v_mul_f64 v[0:1], v[0:1], s[2:3]
	v_cvt_f32_f64_e32 v12, v[4:5]
	v_mov_b32_e32 v4, v11
	v_mad_u64_u32 v[14:15], s[4:5], s9, v64, v[4:5]
	v_add_u32_e32 v4, 0x1800, v61
	v_mov_b32_e32 v9, v6
	ds_read2_b64 v[4:7], v4 offset0:16 offset1:240
	v_cvt_f32_f64_e32 v13, v[0:1]
	v_lshlrev_b64 v[0:1], 3, v[8:9]
	v_mov_b32_e32 v11, v14
	v_mov_b32_e32 v14, s7
	s_waitcnt lgkmcnt(0)
	v_mul_f32_e32 v8, v46, v5
	v_fmac_f32_e32 v8, v45, v4
	v_mul_f32_e32 v4, v46, v4
	v_fma_f32 v4, v45, v5, -v4
	v_cvt_f64_f32_e32 v[8:9], v8
	v_cvt_f64_f32_e32 v[4:5], v4
	v_add_co_u32_e32 v15, vcc, s6, v0
	v_addc_co_u32_e32 v14, vcc, v14, v1, vcc
	v_mul_f64 v[0:1], v[8:9], s[2:3]
	v_mul_f64 v[4:5], v[4:5], s[2:3]
	v_lshlrev_b64 v[8:9], 3, v[10:11]
	s_mul_i32 s4, s9, 0x310
	s_mul_hi_u32 s5, s8, 0x310
	v_add_co_u32_e32 v8, vcc, v15, v8
	s_add_i32 s5, s5, s4
	v_cvt_f32_f64_e32 v0, v[0:1]
	v_cvt_f32_f64_e32 v1, v[4:5]
	v_mul_f32_e32 v4, v44, v3
	v_fmac_f32_e32 v4, v43, v2
	v_mul_f32_e32 v2, v44, v2
	v_fma_f32 v2, v43, v3, -v2
	v_cvt_f64_f32_e32 v[4:5], v4
	v_cvt_f64_f32_e32 v[2:3], v2
	s_mul_i32 s4, s8, 0x310
	v_addc_co_u32_e32 v9, vcc, v14, v9, vcc
	v_mul_f64 v[4:5], v[4:5], s[2:3]
	v_mul_f64 v[2:3], v[2:3], s[2:3]
	s_lshl_b64 s[4:5], s[4:5], 3
	global_store_dwordx2 v[8:9], v[12:13], off
	v_mov_b32_e32 v12, s5
	v_add_co_u32_e32 v8, vcc, s4, v8
	v_addc_co_u32_e32 v9, vcc, v9, v12, vcc
	global_store_dwordx2 v[8:9], v[0:1], off
	v_cvt_f32_f64_e32 v0, v[4:5]
	v_cvt_f32_f64_e32 v1, v[2:3]
	v_mul_f32_e32 v2, v42, v7
	v_mul_f32_e32 v4, v42, v6
	v_fmac_f32_e32 v2, v41, v6
	v_fma_f32 v4, v41, v7, -v4
	v_cvt_f64_f32_e32 v[2:3], v2
	v_cvt_f64_f32_e32 v[4:5], v4
	s_mul_hi_u32 s7, s8, 0xfffffdd0
	s_mul_i32 s6, s9, 0xfffffdd0
	s_sub_i32 s7, s7, s8
	s_add_i32 s7, s7, s6
	s_mul_i32 s6, s8, 0xfffffdd0
	v_mul_f64 v[2:3], v[2:3], s[2:3]
	v_mul_f64 v[4:5], v[4:5], s[2:3]
	s_lshl_b64 s[6:7], s[6:7], 3
	v_mov_b32_e32 v13, s7
	v_add_co_u32_e32 v6, vcc, s6, v8
	v_addc_co_u32_e32 v7, vcc, v9, v13, vcc
	ds_read_b64 v[8:9], v61 offset:3584
	global_store_dwordx2 v[6:7], v[0:1], off
	v_cvt_f32_f64_e32 v0, v[2:3]
	ds_read_b64 v[2:3], v61 offset:9856
	v_cvt_f32_f64_e32 v1, v[4:5]
	s_waitcnt lgkmcnt(1)
	v_mul_f32_e32 v4, v37, v9
	v_fmac_f32_e32 v4, v36, v8
	v_cvt_f64_f32_e32 v[4:5], v4
	v_mul_f32_e32 v8, v37, v8
	v_fma_f32 v8, v36, v9, -v8
	s_waitcnt lgkmcnt(0)
	v_mul_f32_e32 v10, v40, v3
	v_mul_f64 v[4:5], v[4:5], s[2:3]
	v_cvt_f64_f32_e32 v[8:9], v8
	v_fmac_f32_e32 v10, v39, v2
	v_mul_f32_e32 v2, v40, v2
	v_fma_f32 v2, v39, v3, -v2
	v_cvt_f64_f32_e32 v[10:11], v10
	v_cvt_f64_f32_e32 v[2:3], v2
	v_add_co_u32_e32 v6, vcc, s4, v6
	v_mul_f64 v[8:9], v[8:9], s[2:3]
	v_addc_co_u32_e32 v7, vcc, v7, v12, vcc
	global_store_dwordx2 v[6:7], v[0:1], off
	v_cvt_f32_f64_e32 v0, v[4:5]
	v_mul_f64 v[4:5], v[10:11], s[2:3]
	v_mul_f64 v[2:3], v[2:3], s[2:3]
	v_add_co_u32_e32 v6, vcc, s6, v6
	v_cvt_f32_f64_e32 v1, v[8:9]
	v_addc_co_u32_e32 v7, vcc, v7, v13, vcc
	v_cvt_f32_f64_e32 v4, v[4:5]
	v_cvt_f32_f64_e32 v5, v[2:3]
	global_store_dwordx2 v[6:7], v[0:1], off
	v_add_co_u32_e32 v0, vcc, s4, v6
	v_addc_co_u32_e32 v1, vcc, v7, v12, vcc
	global_store_dwordx2 v[0:1], v[4:5], off
	s_and_b64 exec, exec, s[0:1]
	s_cbranch_execz .LBB0_47
; %bb.46:
	v_add_co_u32_e32 v2, vcc, 0x1000, v62
	v_addc_co_u32_e32 v3, vcc, 0, v63, vcc
	s_movk_i32 s0, 0x2000
	v_add_co_u32_e32 v4, vcc, s0, v62
	global_load_dwordx2 v[2:3], v[2:3], off offset:1280
	v_addc_co_u32_e32 v5, vcc, 0, v63, vcc
	global_load_dwordx2 v[4:5], v[4:5], off offset:3456
	ds_read_b64 v[6:7], v61 offset:5376
	ds_read_b64 v[8:9], v61 offset:11648
	v_mov_b32_e32 v10, s7
	v_add_co_u32_e32 v0, vcc, s6, v0
	v_addc_co_u32_e32 v1, vcc, v1, v10, vcc
	v_mov_b32_e32 v11, s5
	s_waitcnt vmcnt(1) lgkmcnt(1)
	v_mul_f32_e32 v12, v7, v3
	v_mul_f32_e32 v3, v6, v3
	v_fmac_f32_e32 v12, v6, v2
	s_waitcnt vmcnt(0) lgkmcnt(0)
	v_mul_f32_e32 v13, v9, v5
	v_mul_f32_e32 v5, v8, v5
	v_fma_f32 v6, v2, v7, -v3
	v_fmac_f32_e32 v13, v8, v4
	v_fma_f32 v8, v4, v9, -v5
	v_cvt_f64_f32_e32 v[2:3], v12
	v_cvt_f64_f32_e32 v[4:5], v6
	;; [unrolled: 1-line block ×4, first 2 shown]
	v_mul_f64 v[2:3], v[2:3], s[2:3]
	v_mul_f64 v[4:5], v[4:5], s[2:3]
	;; [unrolled: 1-line block ×4, first 2 shown]
	v_cvt_f32_f64_e32 v2, v[2:3]
	v_cvt_f32_f64_e32 v3, v[4:5]
	;; [unrolled: 1-line block ×4, first 2 shown]
	v_add_co_u32_e32 v6, vcc, s4, v0
	v_addc_co_u32_e32 v7, vcc, v1, v11, vcc
	global_store_dwordx2 v[0:1], v[2:3], off
	global_store_dwordx2 v[6:7], v[4:5], off
.LBB0_47:
	s_endpgm
	.section	.rodata,"a",@progbits
	.p2align	6, 0x0
	.amdhsa_kernel bluestein_single_back_len1568_dim1_sp_op_CI_CI
		.amdhsa_group_segment_fixed_size 12544
		.amdhsa_private_segment_fixed_size 0
		.amdhsa_kernarg_size 104
		.amdhsa_user_sgpr_count 6
		.amdhsa_user_sgpr_private_segment_buffer 1
		.amdhsa_user_sgpr_dispatch_ptr 0
		.amdhsa_user_sgpr_queue_ptr 0
		.amdhsa_user_sgpr_kernarg_segment_ptr 1
		.amdhsa_user_sgpr_dispatch_id 0
		.amdhsa_user_sgpr_flat_scratch_init 0
		.amdhsa_user_sgpr_private_segment_size 0
		.amdhsa_uses_dynamic_stack 0
		.amdhsa_system_sgpr_private_segment_wavefront_offset 0
		.amdhsa_system_sgpr_workgroup_id_x 1
		.amdhsa_system_sgpr_workgroup_id_y 0
		.amdhsa_system_sgpr_workgroup_id_z 0
		.amdhsa_system_sgpr_workgroup_info 0
		.amdhsa_system_vgpr_workitem_id 0
		.amdhsa_next_free_vgpr 102
		.amdhsa_next_free_sgpr 20
		.amdhsa_reserve_vcc 1
		.amdhsa_reserve_flat_scratch 0
		.amdhsa_float_round_mode_32 0
		.amdhsa_float_round_mode_16_64 0
		.amdhsa_float_denorm_mode_32 3
		.amdhsa_float_denorm_mode_16_64 3
		.amdhsa_dx10_clamp 1
		.amdhsa_ieee_mode 1
		.amdhsa_fp16_overflow 0
		.amdhsa_exception_fp_ieee_invalid_op 0
		.amdhsa_exception_fp_denorm_src 0
		.amdhsa_exception_fp_ieee_div_zero 0
		.amdhsa_exception_fp_ieee_overflow 0
		.amdhsa_exception_fp_ieee_underflow 0
		.amdhsa_exception_fp_ieee_inexact 0
		.amdhsa_exception_int_div_zero 0
	.end_amdhsa_kernel
	.text
.Lfunc_end0:
	.size	bluestein_single_back_len1568_dim1_sp_op_CI_CI, .Lfunc_end0-bluestein_single_back_len1568_dim1_sp_op_CI_CI
                                        ; -- End function
	.section	.AMDGPU.csdata,"",@progbits
; Kernel info:
; codeLenInByte = 8220
; NumSgprs: 24
; NumVgprs: 102
; ScratchSize: 0
; MemoryBound: 0
; FloatMode: 240
; IeeeMode: 1
; LDSByteSize: 12544 bytes/workgroup (compile time only)
; SGPRBlocks: 2
; VGPRBlocks: 25
; NumSGPRsForWavesPerEU: 24
; NumVGPRsForWavesPerEU: 102
; Occupancy: 2
; WaveLimiterHint : 1
; COMPUTE_PGM_RSRC2:SCRATCH_EN: 0
; COMPUTE_PGM_RSRC2:USER_SGPR: 6
; COMPUTE_PGM_RSRC2:TRAP_HANDLER: 0
; COMPUTE_PGM_RSRC2:TGID_X_EN: 1
; COMPUTE_PGM_RSRC2:TGID_Y_EN: 0
; COMPUTE_PGM_RSRC2:TGID_Z_EN: 0
; COMPUTE_PGM_RSRC2:TIDIG_COMP_CNT: 0
	.type	__hip_cuid_4bf4bc1237112801,@object ; @__hip_cuid_4bf4bc1237112801
	.section	.bss,"aw",@nobits
	.globl	__hip_cuid_4bf4bc1237112801
__hip_cuid_4bf4bc1237112801:
	.byte	0                               ; 0x0
	.size	__hip_cuid_4bf4bc1237112801, 1

	.ident	"AMD clang version 19.0.0git (https://github.com/RadeonOpenCompute/llvm-project roc-6.4.0 25133 c7fe45cf4b819c5991fe208aaa96edf142730f1d)"
	.section	".note.GNU-stack","",@progbits
	.addrsig
	.addrsig_sym __hip_cuid_4bf4bc1237112801
	.amdgpu_metadata
---
amdhsa.kernels:
  - .args:
      - .actual_access:  read_only
        .address_space:  global
        .offset:         0
        .size:           8
        .value_kind:     global_buffer
      - .actual_access:  read_only
        .address_space:  global
        .offset:         8
        .size:           8
        .value_kind:     global_buffer
      - .actual_access:  read_only
        .address_space:  global
        .offset:         16
        .size:           8
        .value_kind:     global_buffer
      - .actual_access:  read_only
        .address_space:  global
        .offset:         24
        .size:           8
        .value_kind:     global_buffer
      - .actual_access:  read_only
        .address_space:  global
        .offset:         32
        .size:           8
        .value_kind:     global_buffer
      - .offset:         40
        .size:           8
        .value_kind:     by_value
      - .address_space:  global
        .offset:         48
        .size:           8
        .value_kind:     global_buffer
      - .address_space:  global
        .offset:         56
        .size:           8
        .value_kind:     global_buffer
      - .address_space:  global
        .offset:         64
        .size:           8
        .value_kind:     global_buffer
      - .address_space:  global
        .offset:         72
        .size:           8
        .value_kind:     global_buffer
      - .offset:         80
        .size:           4
        .value_kind:     by_value
      - .address_space:  global
        .offset:         88
        .size:           8
        .value_kind:     global_buffer
      - .address_space:  global
        .offset:         96
        .size:           8
        .value_kind:     global_buffer
    .group_segment_fixed_size: 12544
    .kernarg_segment_align: 8
    .kernarg_segment_size: 104
    .language:       OpenCL C
    .language_version:
      - 2
      - 0
    .max_flat_workgroup_size: 224
    .name:           bluestein_single_back_len1568_dim1_sp_op_CI_CI
    .private_segment_fixed_size: 0
    .sgpr_count:     24
    .sgpr_spill_count: 0
    .symbol:         bluestein_single_back_len1568_dim1_sp_op_CI_CI.kd
    .uniform_work_group_size: 1
    .uses_dynamic_stack: false
    .vgpr_count:     102
    .vgpr_spill_count: 0
    .wavefront_size: 64
amdhsa.target:   amdgcn-amd-amdhsa--gfx906
amdhsa.version:
  - 1
  - 2
...

	.end_amdgpu_metadata
